;; amdgpu-corpus repo=ROCm/rocm-examples kind=compiled arch=gfx1250 opt=O3
	.amdgcn_target "amdgcn-amd-amdhsa--gfx1250"
	.amdhsa_code_object_version 6
	.section	.text._Z11convolutionILm5EEvPKfPf15HIP_vector_typeIjLj2EE,"axG",@progbits,_Z11convolutionILm5EEvPKfPf15HIP_vector_typeIjLj2EE,comdat
	.protected	_Z11convolutionILm5EEvPKfPf15HIP_vector_typeIjLj2EE ; -- Begin function _Z11convolutionILm5EEvPKfPf15HIP_vector_typeIjLj2EE
	.globl	_Z11convolutionILm5EEvPKfPf15HIP_vector_typeIjLj2EE
	.p2align	8
	.type	_Z11convolutionILm5EEvPKfPf15HIP_vector_typeIjLj2EE,@function
_Z11convolutionILm5EEvPKfPf15HIP_vector_typeIjLj2EE: ; @_Z11convolutionILm5EEvPKfPf15HIP_vector_typeIjLj2EE
; %bb.0:
	s_clause 0x1
	s_load_b32 s2, s[0:1], 0x24
	s_load_b64 s[4:5], s[0:1], 0x10
	s_bfe_u32 s6, ttmp6, 0x4000c
	s_bfe_u32 s7, ttmp6, 0x40010
	s_add_co_i32 s6, s6, 1
	s_add_co_i32 s7, s7, 1
	s_and_b32 s3, ttmp6, 15
	s_bfe_u32 s8, ttmp6, 0x40004
	s_mul_i32 s6, ttmp9, s6
	s_mul_i32 s7, ttmp7, s7
	s_getreg_b32 s9, hwreg(HW_REG_IB_STS2, 6, 4)
	v_and_b32_e32 v1, 0x3ff, v0
	v_bfe_u32 v0, v0, 10, 10
	s_add_co_i32 s3, s3, s6
	s_add_co_i32 s8, s8, s7
	s_wait_kmcnt 0x0
	s_lshr_b32 s6, s2, 16
	s_and_b32 s2, s2, 0xffff
	s_cmp_eq_u32 s9, 0
	s_cselect_b32 s3, ttmp9, s3
	s_cselect_b32 s7, ttmp7, s8
	v_mad_u32 v2, s3, s2, v1
	v_mad_u32 v0, s7, s6, v0
	s_mov_b32 s3, 0
	s_delay_alu instid0(VALU_DEP_2) | instskip(NEXT) | instid1(VALU_DEP_2)
	v_cmp_gt_u32_e32 vcc_lo, s4, v2
	v_cmp_gt_u32_e64 s2, s5, v0
	s_and_b32 s2, vcc_lo, s2
	s_delay_alu instid0(SALU_CYCLE_1)
	s_and_saveexec_b32 s5, s2
	s_cbranch_execz .LBB0_2
; %bb.1:
	v_mov_b32_e32 v1, 0
	s_mov_b32 s5, s3
	s_load_b128 s[0:3], s[0:1], 0x0
	s_add_nc_u64 s[6:7], s[4:5], 4
	s_delay_alu instid0(VALU_DEP_1) | instid1(SALU_CYCLE_1)
	v_mul_u64_e32 v[4:5], s[6:7], v[0:1]
	v_mov_b32_e32 v3, v1
	s_delay_alu instid0(VALU_DEP_1) | instskip(SKIP_1) | instid1(VALU_DEP_3)
	v_lshlrev_b64_e32 v[2:3], 2, v[2:3]
	s_wait_kmcnt 0x0
	v_lshl_add_u64 v[4:5], v[4:5], 2, s[0:1]
	s_lshl_b64 s[0:1], s[6:7], 2
	s_delay_alu instid0(VALU_DEP_1)
	v_add_nc_u64_e32 v[12:13], v[4:5], v[2:3]
	s_clause 0x1
	global_load_b128 v[4:7], v[12:13], off
	global_load_b32 v24, v[12:13], off offset:16
	v_lshl_add_u64 v[14:15], s[4:5], 2, v[12:13]
	v_lshl_add_u64 v[16:17], s[6:7], 3, v[12:13]
	s_clause 0x3
	global_load_b128 v[8:11], v[14:15], off offset:16
	global_load_b32 v31, v[14:15], off offset:32
	global_load_b128 v[12:15], v[16:17], off
	global_load_b32 v25, v[16:17], off offset:16
	v_add_nc_u64_e32 v[26:27], s[0:1], v[16:17]
	global_load_b128 v[16:19], v[26:27], off
	v_add_nc_u64_e32 v[28:29], s[0:1], v[26:27]
	s_get_pc_i64 s[0:1]
	s_add_nc_u64 s[0:1], s[0:1], d_mask@rel64+4
	s_clause 0x2
	global_load_b128 v[20:23], v[28:29], off
	global_load_b32 v30, v[26:27], off offset:16
	global_load_b32 v33, v[28:29], off offset:16
	s_load_b256 s[8:15], s[0:1], 0x0
	s_wait_xcnt 0x0
	s_get_pc_i64 s[0:1]
	s_add_nc_u64 s[0:1], s[0:1], d_mask@rel64+36
	s_load_b128 s[16:19], s[0:1], 0x0
	s_wait_xcnt 0x0
	s_get_pc_i64 s[0:1]
	s_add_nc_u64 s[0:1], s[0:1], d_mask@rel64+52
	s_load_b128 s[20:23], s[0:1], 0x0
	s_wait_xcnt 0x0
	s_get_pc_i64 s[0:1]
	s_add_nc_u64 s[0:1], s[0:1], d_mask@rel64+64
	s_load_b64 s[6:7], s[0:1], 0x20
	s_wait_loadcnt 0x9
	s_wait_kmcnt 0x0
	v_fma_f32 v26, v4, s8, 0
	s_delay_alu instid0(VALU_DEP_1) | instskip(SKIP_1) | instid1(VALU_DEP_2)
	v_dual_mov_b32 v4, s21 :: v_dual_fmac_f32 v26, s9, v5
	v_mul_u64_e32 v[0:1], s[4:5], v[0:1]
	v_dual_mov_b32 v5, s22 :: v_dual_fmac_f32 v26, s10, v6
	s_delay_alu instid0(VALU_DEP_1) | instskip(SKIP_1) | instid1(VALU_DEP_1)
	v_fmac_f32_e32 v26, s11, v7
	s_wait_loadcnt 0x5
	v_dual_fmac_f32 v26, s12, v24 :: v_dual_mov_b32 v24, v15
	s_wait_loadcnt 0x2
	s_delay_alu instid0(VALU_DEP_1) | instskip(NEXT) | instid1(VALU_DEP_2)
	v_dual_mov_b32 v32, v23 :: v_dual_fmac_f32 v26, s13, v8
	v_pk_mul_f32 v[4:5], v[24:25], v[4:5]
	s_delay_alu instid0(VALU_DEP_2) | instskip(NEXT) | instid1(VALU_DEP_1)
	v_dual_fmac_f32 v26, s14, v9 :: v_dual_mov_b32 v9, v22
	v_fmac_f32_e32 v26, s15, v10
	s_load_b256 s[8:15], s[0:1], 0x0
	v_lshl_add_u64 v[0:1], v[0:1], 2, s[2:3]
	s_delay_alu instid0(VALU_DEP_2) | instskip(NEXT) | instid1(VALU_DEP_2)
	v_fmac_f32_e32 v26, s16, v11
	v_add_nc_u64_e32 v[0:1], v[0:1], v[2:3]
	s_wait_kmcnt 0x0
	v_mov_b64_e32 v[6:7], s[8:9]
	s_delay_alu instid0(VALU_DEP_1) | instskip(SKIP_1) | instid1(VALU_DEP_1)
	v_pk_mul_f32 v[6:7], v[16:17], v[6:7]
	v_dual_fmac_f32 v26, s17, v31 :: v_dual_mov_b32 v31, v20
	v_fmac_f32_e32 v26, s18, v12
	s_delay_alu instid0(VALU_DEP_1) | instskip(NEXT) | instid1(VALU_DEP_1)
	v_fmac_f32_e32 v26, s19, v13
	v_fmac_f32_e32 v26, s20, v14
	s_delay_alu instid0(VALU_DEP_1) | instskip(NEXT) | instid1(VALU_DEP_1)
	v_add_f32_e32 v4, v26, v4
	v_dual_add_f32 v8, v4, v5 :: v_dual_mov_b32 v4, s10
	s_delay_alu instid0(VALU_DEP_1) | instskip(NEXT) | instid1(VALU_DEP_1)
	v_dual_mov_b32 v5, s11 :: v_dual_add_f32 v6, v8, v6
	v_pk_mul_f32 v[4:5], v[18:19], v[4:5]
	s_delay_alu instid0(VALU_DEP_2) | instskip(NEXT) | instid1(VALU_DEP_1)
	v_dual_add_f32 v8, v6, v7 :: v_dual_mov_b32 v6, s12
	v_dual_mov_b32 v7, s13 :: v_dual_add_f32 v4, v8, v4
	v_mov_b32_e32 v8, v21
	s_wait_loadcnt 0x1
	s_delay_alu instid0(VALU_DEP_2) | instskip(NEXT) | instid1(VALU_DEP_3)
	v_pk_mul_f32 v[6:7], v[30:31], v[6:7]
	v_dual_add_f32 v10, v4, v5 :: v_dual_mov_b32 v4, s14
	v_mov_b32_e32 v5, s15
	s_delay_alu instid0(VALU_DEP_1) | instskip(NEXT) | instid1(VALU_DEP_3)
	v_pk_mul_f32 v[4:5], v[8:9], v[4:5]
	v_add_f32_e32 v6, v10, v6
	s_delay_alu instid0(VALU_DEP_1) | instskip(SKIP_1) | instid1(VALU_DEP_2)
	v_add_f32_e32 v8, v6, v7
	v_mov_b64_e32 v[6:7], s[6:7]
	v_add_f32_e32 v4, v8, v4
	s_delay_alu instid0(VALU_DEP_1) | instskip(SKIP_1) | instid1(VALU_DEP_3)
	v_add_f32_e32 v8, v4, v5
	s_wait_loadcnt 0x0
	v_pk_mul_f32 v[4:5], v[32:33], v[6:7]
	s_delay_alu instid0(VALU_DEP_1) | instskip(NEXT) | instid1(VALU_DEP_1)
	v_add_f32_e32 v4, v8, v4
	v_add_f32_e32 v2, v4, v5
	global_store_b32 v[0:1], v2, off
.LBB0_2:
	s_endpgm
	.section	.rodata,"a",@progbits
	.p2align	6, 0x0
	.amdhsa_kernel _Z11convolutionILm5EEvPKfPf15HIP_vector_typeIjLj2EE
		.amdhsa_group_segment_fixed_size 0
		.amdhsa_private_segment_fixed_size 0
		.amdhsa_kernarg_size 280
		.amdhsa_user_sgpr_count 2
		.amdhsa_user_sgpr_dispatch_ptr 0
		.amdhsa_user_sgpr_queue_ptr 0
		.amdhsa_user_sgpr_kernarg_segment_ptr 1
		.amdhsa_user_sgpr_dispatch_id 0
		.amdhsa_user_sgpr_kernarg_preload_length 0
		.amdhsa_user_sgpr_kernarg_preload_offset 0
		.amdhsa_user_sgpr_private_segment_size 0
		.amdhsa_wavefront_size32 1
		.amdhsa_uses_dynamic_stack 0
		.amdhsa_enable_private_segment 0
		.amdhsa_system_sgpr_workgroup_id_x 1
		.amdhsa_system_sgpr_workgroup_id_y 1
		.amdhsa_system_sgpr_workgroup_id_z 0
		.amdhsa_system_sgpr_workgroup_info 0
		.amdhsa_system_vgpr_workitem_id 1
		.amdhsa_next_free_vgpr 34
		.amdhsa_next_free_sgpr 24
		.amdhsa_named_barrier_count 0
		.amdhsa_reserve_vcc 1
		.amdhsa_float_round_mode_32 0
		.amdhsa_float_round_mode_16_64 0
		.amdhsa_float_denorm_mode_32 3
		.amdhsa_float_denorm_mode_16_64 3
		.amdhsa_fp16_overflow 0
		.amdhsa_memory_ordered 1
		.amdhsa_forward_progress 1
		.amdhsa_inst_pref_size 7
		.amdhsa_round_robin_scheduling 0
		.amdhsa_exception_fp_ieee_invalid_op 0
		.amdhsa_exception_fp_denorm_src 0
		.amdhsa_exception_fp_ieee_div_zero 0
		.amdhsa_exception_fp_ieee_overflow 0
		.amdhsa_exception_fp_ieee_underflow 0
		.amdhsa_exception_fp_ieee_inexact 0
		.amdhsa_exception_int_div_zero 0
	.end_amdhsa_kernel
	.section	.text._Z11convolutionILm5EEvPKfPf15HIP_vector_typeIjLj2EE,"axG",@progbits,_Z11convolutionILm5EEvPKfPf15HIP_vector_typeIjLj2EE,comdat
.Lfunc_end0:
	.size	_Z11convolutionILm5EEvPKfPf15HIP_vector_typeIjLj2EE, .Lfunc_end0-_Z11convolutionILm5EEvPKfPf15HIP_vector_typeIjLj2EE
                                        ; -- End function
	.set _Z11convolutionILm5EEvPKfPf15HIP_vector_typeIjLj2EE.num_vgpr, 34
	.set _Z11convolutionILm5EEvPKfPf15HIP_vector_typeIjLj2EE.num_agpr, 0
	.set _Z11convolutionILm5EEvPKfPf15HIP_vector_typeIjLj2EE.numbered_sgpr, 24
	.set _Z11convolutionILm5EEvPKfPf15HIP_vector_typeIjLj2EE.num_named_barrier, 0
	.set _Z11convolutionILm5EEvPKfPf15HIP_vector_typeIjLj2EE.private_seg_size, 0
	.set _Z11convolutionILm5EEvPKfPf15HIP_vector_typeIjLj2EE.uses_vcc, 1
	.set _Z11convolutionILm5EEvPKfPf15HIP_vector_typeIjLj2EE.uses_flat_scratch, 0
	.set _Z11convolutionILm5EEvPKfPf15HIP_vector_typeIjLj2EE.has_dyn_sized_stack, 0
	.set _Z11convolutionILm5EEvPKfPf15HIP_vector_typeIjLj2EE.has_recursion, 0
	.set _Z11convolutionILm5EEvPKfPf15HIP_vector_typeIjLj2EE.has_indirect_call, 0
	.section	.AMDGPU.csdata,"",@progbits
; Kernel info:
; codeLenInByte = 864
; TotalNumSgprs: 26
; NumVgprs: 34
; ScratchSize: 0
; MemoryBound: 0
; FloatMode: 240
; IeeeMode: 1
; LDSByteSize: 0 bytes/workgroup (compile time only)
; SGPRBlocks: 0
; VGPRBlocks: 2
; NumSGPRsForWavesPerEU: 26
; NumVGPRsForWavesPerEU: 34
; NamedBarCnt: 0
; Occupancy: 16
; WaveLimiterHint : 0
; COMPUTE_PGM_RSRC2:SCRATCH_EN: 0
; COMPUTE_PGM_RSRC2:USER_SGPR: 2
; COMPUTE_PGM_RSRC2:TRAP_HANDLER: 0
; COMPUTE_PGM_RSRC2:TGID_X_EN: 1
; COMPUTE_PGM_RSRC2:TGID_Y_EN: 1
; COMPUTE_PGM_RSRC2:TGID_Z_EN: 0
; COMPUTE_PGM_RSRC2:TIDIG_COMP_CNT: 1
	.section	.AMDGPU.gpr_maximums,"",@progbits
	.set amdgpu.max_num_vgpr, 0
	.set amdgpu.max_num_agpr, 0
	.set amdgpu.max_num_sgpr, 0
	.section	.AMDGPU.csdata,"",@progbits
	.protected	d_mask                  ; @d_mask
	.type	d_mask,@object
	.section	.rodata,"a",@progbits
	.globl	d_mask
	.p2align	4, 0x0
d_mask:
	.zero	100
	.size	d_mask, 100

	.type	__hip_cuid_b6db0a56ad590a1e,@object ; @__hip_cuid_b6db0a56ad590a1e
	.section	.bss,"aw",@nobits
	.globl	__hip_cuid_b6db0a56ad590a1e
__hip_cuid_b6db0a56ad590a1e:
	.byte	0                               ; 0x0
	.size	__hip_cuid_b6db0a56ad590a1e, 1

	.ident	"AMD clang version 22.0.0git (https://github.com/RadeonOpenCompute/llvm-project roc-7.2.4 26084 f58b06dce1f9c15707c5f808fd002e18c2accf7e)"
	.section	".note.GNU-stack","",@progbits
	.addrsig
	.addrsig_sym d_mask
	.addrsig_sym __hip_cuid_b6db0a56ad590a1e
	.amdgpu_metadata
---
amdhsa.kernels:
  - .args:
      - .address_space:  global
        .offset:         0
        .size:           8
        .value_kind:     global_buffer
      - .address_space:  global
        .offset:         8
        .size:           8
        .value_kind:     global_buffer
      - .offset:         16
        .size:           8
        .value_kind:     by_value
      - .offset:         24
        .size:           4
        .value_kind:     hidden_block_count_x
      - .offset:         28
        .size:           4
        .value_kind:     hidden_block_count_y
      - .offset:         32
        .size:           4
        .value_kind:     hidden_block_count_z
      - .offset:         36
        .size:           2
        .value_kind:     hidden_group_size_x
      - .offset:         38
        .size:           2
        .value_kind:     hidden_group_size_y
      - .offset:         40
        .size:           2
        .value_kind:     hidden_group_size_z
      - .offset:         42
        .size:           2
        .value_kind:     hidden_remainder_x
      - .offset:         44
        .size:           2
        .value_kind:     hidden_remainder_y
      - .offset:         46
        .size:           2
        .value_kind:     hidden_remainder_z
      - .offset:         64
        .size:           8
        .value_kind:     hidden_global_offset_x
      - .offset:         72
        .size:           8
        .value_kind:     hidden_global_offset_y
      - .offset:         80
        .size:           8
        .value_kind:     hidden_global_offset_z
      - .offset:         88
        .size:           2
        .value_kind:     hidden_grid_dims
    .group_segment_fixed_size: 0
    .kernarg_segment_align: 8
    .kernarg_segment_size: 280
    .language:       OpenCL C
    .language_version:
      - 2
      - 0
    .max_flat_workgroup_size: 1024
    .name:           _Z11convolutionILm5EEvPKfPf15HIP_vector_typeIjLj2EE
    .private_segment_fixed_size: 0
    .sgpr_count:     26
    .sgpr_spill_count: 0
    .symbol:         _Z11convolutionILm5EEvPKfPf15HIP_vector_typeIjLj2EE.kd
    .uniform_work_group_size: 1
    .uses_dynamic_stack: false
    .vgpr_count:     34
    .vgpr_spill_count: 0
    .wavefront_size: 32
amdhsa.target:   amdgcn-amd-amdhsa--gfx1250
amdhsa.version:
  - 1
  - 2
...

	.end_amdgpu_metadata
